;; amdgpu-corpus repo=ROCm/rocFFT kind=compiled arch=gfx1030 opt=O3
	.text
	.amdgcn_target "amdgcn-amd-amdhsa--gfx1030"
	.amdhsa_code_object_version 6
	.protected	bluestein_single_fwd_len270_dim1_dp_op_CI_CI ; -- Begin function bluestein_single_fwd_len270_dim1_dp_op_CI_CI
	.globl	bluestein_single_fwd_len270_dim1_dp_op_CI_CI
	.p2align	8
	.type	bluestein_single_fwd_len270_dim1_dp_op_CI_CI,@function
bluestein_single_fwd_len270_dim1_dp_op_CI_CI: ; @bluestein_single_fwd_len270_dim1_dp_op_CI_CI
; %bb.0:
	s_load_dwordx4 s[12:15], s[4:5], 0x28
	v_mul_u32_u24_e32 v1, 0x97c, v0
	v_mov_b32_e32 v185, 0
	s_mov_b32 s0, exec_lo
	v_lshrrev_b32_e32 v41, 16, v1
	v_lshl_add_u32 v184, s6, 2, v41
	s_waitcnt lgkmcnt(0)
	v_cmpx_gt_u64_e64 s[12:13], v[184:185]
	s_cbranch_execz .LBB0_26
; %bb.1:
	s_clause 0x1
	s_load_dwordx4 s[8:11], s[4:5], 0x18
	s_load_dwordx4 s[0:3], s[4:5], 0x0
	v_mul_lo_u16 v1, v41, 27
	v_and_b32_e32 v41, 3, v41
	s_mov_b32 s7, 0xbfee6f0e
	s_mov_b32 s12, 0x4755a5e
	;; [unrolled: 1-line block ×3, first 2 shown]
	v_sub_nc_u16 v40, v0, v1
	v_mul_u32_u24_e32 v123, 0x10e, v41
	s_load_dwordx2 s[4:5], s[4:5], 0x38
	v_and_b32_e32 v189, 0xffff, v40
	v_lshlrev_b32_e32 v191, 4, v123
	v_lshlrev_b32_e32 v122, 4, v189
	s_waitcnt lgkmcnt(0)
	s_load_dwordx4 s[16:19], s[8:9], 0x0
	v_add_co_u32 v193, s6, s0, v122
	v_add_co_ci_u32_e64 v194, null, s1, 0, s6
	v_add_nc_u32_e32 v190, v191, v122
	s_waitcnt lgkmcnt(0)
	v_mad_u64_u32 v[16:17], null, s18, v184, 0
	v_mad_u64_u32 v[20:21], null, s16, v189, 0
	s_mul_i32 s6, s16, 0x1b0
	v_mov_b32_e32 v0, v17
	v_mov_b32_e32 v1, v21
	v_mad_u64_u32 v[2:3], null, s19, v184, v[0:1]
	s_mov_b32 s18, 0x9b97f4a8
	s_mov_b32 s19, 0x3fe9e377
	v_mad_u64_u32 v[18:19], null, s17, v189, v[1:2]
	v_mov_b32_e32 v17, v2
	s_clause 0x3
	global_load_dwordx4 v[0:3], v122, s[0:1]
	global_load_dwordx4 v[4:7], v122, s[0:1] offset:432
	global_load_dwordx4 v[8:11], v122, s[0:1] offset:864
	;; [unrolled: 1-line block ×3, first 2 shown]
	v_lshlrev_b64 v[22:23], 4, v[16:17]
	v_mov_b32_e32 v21, v18
	global_load_dwordx4 v[16:19], v122, s[0:1] offset:1728
	s_mul_i32 s0, s17, 0x1b0
	s_mul_hi_u32 s1, s16, 0x1b0
	s_mov_b32 s16, 0x372fe950
	v_lshlrev_b64 v[20:21], 4, v[20:21]
	v_add_co_u32 v22, vcc_lo, s14, v22
	v_add_co_ci_u32_e32 v23, vcc_lo, s15, v23, vcc_lo
	s_add_i32 s1, s1, s0
	v_add_co_u32 v28, vcc_lo, v22, v20
	v_add_co_ci_u32_e32 v29, vcc_lo, v23, v21, vcc_lo
	s_mov_b32 s15, 0xbfe2cf23
	v_add_co_u32 v30, vcc_lo, v28, s6
	v_add_co_ci_u32_e32 v31, vcc_lo, s1, v29, vcc_lo
	v_add_co_u32 v36, vcc_lo, 0x800, v193
	v_add_co_ci_u32_e32 v37, vcc_lo, 0, v194, vcc_lo
	;; [unrolled: 2-line block ×3, first 2 shown]
	s_clause 0x1
	global_load_dwordx4 v[20:23], v[36:37], off offset:112
	global_load_dwordx4 v[24:27], v[36:37], off offset:544
	v_add_co_u32 v34, vcc_lo, v32, s6
	v_add_co_ci_u32_e32 v35, vcc_lo, s1, v33, vcc_lo
	s_clause 0x1
	global_load_dwordx4 v[42:45], v[28:29], off
	global_load_dwordx4 v[46:49], v[30:31], off
	v_add_co_u32 v28, vcc_lo, v34, s6
	v_add_co_ci_u32_e32 v29, vcc_lo, s1, v35, vcc_lo
	s_clause 0x1
	global_load_dwordx4 v[50:53], v[32:33], off
	global_load_dwordx4 v[54:57], v[34:35], off
	v_add_co_u32 v30, vcc_lo, v28, s6
	v_add_co_ci_u32_e32 v31, vcc_lo, s1, v29, vcc_lo
	global_load_dwordx4 v[58:61], v[28:29], off
	v_add_co_u32 v28, vcc_lo, v30, s6
	v_add_co_ci_u32_e32 v29, vcc_lo, s1, v31, vcc_lo
	;; [unrolled: 3-line block ×5, first 2 shown]
	s_clause 0x1
	global_load_dwordx4 v[32:35], v[36:37], off offset:976
	global_load_dwordx4 v[28:31], v[36:37], off offset:1408
	global_load_dwordx4 v[74:77], v[38:39], off
	global_load_dwordx4 v[36:39], v[36:37], off offset:1840
	global_load_dwordx4 v[78:81], v[78:79], off
	s_load_dwordx4 s[8:11], s[10:11], 0x0
	s_mov_b32 s0, 0x134454ff
	s_mov_b32 s1, 0x3fee6f0e
	;; [unrolled: 1-line block ×5, first 2 shown]
	v_cmp_gt_u16_e32 vcc_lo, 9, v40
	s_waitcnt vmcnt(12)
	v_mul_f64 v[82:83], v[44:45], v[2:3]
	v_mul_f64 v[84:85], v[42:43], v[2:3]
	s_waitcnt vmcnt(11)
	v_mul_f64 v[86:87], v[48:49], v[6:7]
	v_mul_f64 v[88:89], v[46:47], v[6:7]
	;; [unrolled: 3-line block ×7, first 2 shown]
	v_fma_f64 v[41:42], v[42:43], v[0:1], v[82:83]
	v_fma_f64 v[43:44], v[44:45], v[0:1], -v[84:85]
	v_fma_f64 v[45:46], v[46:47], v[4:5], v[86:87]
	v_fma_f64 v[47:48], v[48:49], v[4:5], -v[88:89]
	s_waitcnt vmcnt(4)
	v_mul_f64 v[110:111], v[72:73], v[34:35]
	v_mul_f64 v[112:113], v[70:71], v[34:35]
	s_waitcnt vmcnt(2)
	v_mul_f64 v[114:115], v[76:77], v[30:31]
	v_mul_f64 v[116:117], v[74:75], v[30:31]
	;; [unrolled: 3-line block ×3, first 2 shown]
	v_fma_f64 v[49:50], v[50:51], v[8:9], v[90:91]
	v_fma_f64 v[51:52], v[52:53], v[8:9], -v[92:93]
	v_fma_f64 v[53:54], v[54:55], v[12:13], v[94:95]
	v_fma_f64 v[55:56], v[56:57], v[12:13], -v[96:97]
	;; [unrolled: 2-line block ×8, first 2 shown]
	ds_write_b128 v190, v[41:44]
	ds_write_b128 v190, v[45:48] offset:432
	ds_write_b128 v190, v[49:52] offset:864
	;; [unrolled: 1-line block ×9, first 2 shown]
	s_waitcnt lgkmcnt(0)
	s_barrier
	buffer_gl0_inv
	ds_read_b128 v[41:44], v190 offset:2160
	ds_read_b128 v[45:48], v190 offset:3024
	;; [unrolled: 1-line block ×6, first 2 shown]
	ds_read_b128 v[65:68], v190
	ds_read_b128 v[69:72], v190 offset:2592
	ds_read_b128 v[73:76], v190 offset:3456
	;; [unrolled: 1-line block ×3, first 2 shown]
	s_waitcnt lgkmcnt(0)
	s_barrier
	buffer_gl0_inv
	v_add_f64 v[81:82], v[41:42], v[45:46]
	v_add_f64 v[87:88], v[43:44], v[47:48]
	;; [unrolled: 1-line block ×4, first 2 shown]
	v_add_f64 v[99:100], v[55:56], -v[51:52]
	v_add_f64 v[101:102], v[43:44], -v[47:48]
	;; [unrolled: 1-line block ×4, first 2 shown]
	v_add_f64 v[91:92], v[61:62], v[69:70]
	v_add_f64 v[105:106], v[57:58], v[73:74]
	v_add_f64 v[113:114], v[63:64], v[71:72]
	v_add_f64 v[115:116], v[59:60], v[75:76]
	v_add_f64 v[117:118], v[53:54], -v[41:42]
	v_add_f64 v[119:120], v[49:50], -v[45:46]
	v_add_f64 v[121:122], v[41:42], -v[53:54]
	v_add_f64 v[53:54], v[77:78], v[53:54]
	v_add_f64 v[123:124], v[45:46], -v[49:50]
	v_add_f64 v[127:128], v[55:56], -v[43:44]
	;; [unrolled: 1-line block ×4, first 2 shown]
	v_add_f64 v[55:56], v[79:80], v[55:56]
	v_add_f64 v[129:130], v[51:52], -v[47:48]
	v_fma_f64 v[81:82], v[81:82], -0.5, v[77:78]
	v_fma_f64 v[87:88], v[87:88], -0.5, v[79:80]
	;; [unrolled: 1-line block ×4, first 2 shown]
	v_add_f64 v[89:90], v[65:66], v[57:58]
	v_add_f64 v[109:110], v[67:68], v[59:60]
	v_add_f64 v[93:94], v[59:60], -v[75:76]
	v_add_f64 v[95:96], v[57:58], -v[61:62]
	;; [unrolled: 1-line block ×7, first 2 shown]
	v_fma_f64 v[91:92], v[91:92], -0.5, v[65:66]
	v_fma_f64 v[65:66], v[105:106], -0.5, v[65:66]
	;; [unrolled: 1-line block ×4, first 2 shown]
	v_add_f64 v[113:114], v[117:118], v[119:120]
	v_add_f64 v[115:116], v[121:122], v[123:124]
	;; [unrolled: 1-line block ×3, first 2 shown]
	v_add_f64 v[125:126], v[59:60], -v[63:64]
	v_add_f64 v[117:118], v[127:128], v[129:130]
	v_fma_f64 v[77:78], v[99:100], s[0:1], v[81:82]
	v_fma_f64 v[81:82], v[99:100], s[6:7], v[81:82]
	;; [unrolled: 1-line block ×8, first 2 shown]
	v_add_f64 v[59:60], v[63:64], -v[59:60]
	v_add_f64 v[61:62], v[89:90], v[61:62]
	v_add_f64 v[63:64], v[109:110], v[63:64]
	;; [unrolled: 1-line block ×4, first 2 shown]
	v_add_f64 v[139:140], v[69:70], -v[73:74]
	v_add_f64 v[145:146], v[75:76], -v[71:72]
	v_add_f64 v[89:90], v[95:96], v[97:98]
	v_fma_f64 v[53:54], v[93:94], s[0:1], v[91:92]
	v_fma_f64 v[55:56], v[93:94], s[6:7], v[91:92]
	v_fma_f64 v[91:92], v[141:142], s[6:7], v[65:66]
	v_fma_f64 v[65:66], v[141:142], s[0:1], v[65:66]
	v_fma_f64 v[97:98], v[57:58], s[6:7], v[105:106]
	v_add_f64 v[147:148], v[71:72], -v[75:76]
	v_fma_f64 v[77:78], v[101:102], s[12:13], v[77:78]
	v_fma_f64 v[81:82], v[101:102], s[14:15], v[81:82]
	;; [unrolled: 1-line block ×11, first 2 shown]
	v_add_f64 v[61:62], v[61:62], v[69:70]
	v_add_f64 v[63:64], v[63:64], v[71:72]
	;; [unrolled: 1-line block ×6, first 2 shown]
	v_fma_f64 v[45:46], v[141:142], s[12:13], v[53:54]
	v_fma_f64 v[47:48], v[141:142], s[14:15], v[55:56]
	;; [unrolled: 1-line block ×4, first 2 shown]
	v_add_f64 v[59:60], v[59:60], v[147:148]
	v_fma_f64 v[77:78], v[113:114], s[16:17], v[77:78]
	v_fma_f64 v[81:82], v[113:114], s[16:17], v[81:82]
	;; [unrolled: 1-line block ×12, first 2 shown]
	v_add_f64 v[61:62], v[61:62], v[73:74]
	v_add_f64 v[63:64], v[63:64], v[75:76]
	;; [unrolled: 1-line block ×4, first 2 shown]
                                        ; implicit-def: $vgpr116_vgpr117
	v_fma_f64 v[73:74], v[89:90], s[16:17], v[45:46]
	v_fma_f64 v[89:90], v[89:90], s[16:17], v[47:48]
	;; [unrolled: 1-line block ×3, first 2 shown]
	v_mul_f64 v[87:88], v[77:78], s[18:19]
	v_mul_f64 v[77:78], v[77:78], s[14:15]
	;; [unrolled: 1-line block ×8, first 2 shown]
	v_fma_f64 v[113:114], v[59:60], s[16:17], v[57:58]
	v_fma_f64 v[75:76], v[95:96], s[16:17], v[53:54]
	;; [unrolled: 1-line block ×5, first 2 shown]
	v_add_f64 v[41:42], v[61:62], v[49:50]
	v_add_f64 v[43:44], v[63:64], v[51:52]
	v_add_f64 v[45:46], v[61:62], -v[49:50]
	v_add_f64 v[47:48], v[63:64], -v[51:52]
	v_fma_f64 v[65:66], v[67:68], s[12:13], v[87:88]
	v_fma_f64 v[67:68], v[67:68], s[18:19], v[77:78]
	;; [unrolled: 1-line block ×3, first 2 shown]
	v_fma_f64 v[79:80], v[83:84], s[0:1], -v[93:94]
	v_fma_f64 v[83:84], v[85:86], s[12:13], -v[97:98]
	v_fma_f64 v[85:86], v[103:104], s[16:17], v[99:100]
	v_fma_f64 v[87:88], v[105:106], s[6:7], -v[101:102]
	v_fma_f64 v[91:92], v[81:82], s[14:15], -v[109:110]
	v_mul_lo_u16 v93, v40, 10
	v_add_f64 v[49:50], v[73:74], v[65:66]
	v_add_f64 v[51:52], v[111:112], v[67:68]
	;; [unrolled: 1-line block ×8, first 2 shown]
	v_add_f64 v[65:66], v[73:74], -v[65:66]
	v_add_f64 v[67:68], v[111:112], -v[67:68]
	v_add_f64 v[76:77], v[75:76], -v[71:72]
	v_add_f64 v[80:81], v[95:96], -v[79:80]
	v_add_f64 v[78:79], v[107:108], -v[85:86]
	v_add_f64 v[72:73], v[89:90], -v[83:84]
	v_add_f64 v[82:83], v[113:114], -v[87:88]
	v_add_f64 v[74:75], v[69:70], -v[91:92]
	v_and_b32_e32 v69, 0xffff, v93
                                        ; implicit-def: $vgpr112_vgpr113
	v_lshl_add_u32 v192, v69, 4, v191
	ds_write_b128 v192, v[41:44]
	ds_write_b128 v192, v[45:48] offset:80
	ds_write_b128 v192, v[49:52] offset:16
	;; [unrolled: 1-line block ×9, first 2 shown]
	s_waitcnt lgkmcnt(0)
	s_barrier
	buffer_gl0_inv
	ds_read_b128 v[76:79], v190
	ds_read_b128 v[84:87], v190 offset:432
	ds_read_b128 v[88:91], v190 offset:2880
	;; [unrolled: 1-line block ×8, first 2 shown]
	s_and_saveexec_b32 s0, vcc_lo
	s_cbranch_execz .LBB0_3
; %bb.2:
	ds_read_b128 v[72:75], v190 offset:1296
	ds_read_b128 v[112:115], v190 offset:2736
	;; [unrolled: 1-line block ×3, first 2 shown]
.LBB0_3:
	s_or_b32 exec_lo, exec_lo, s0
	v_and_b32_e32 v40, 0xff, v189
	v_add_co_u32 v185, s0, v189, 27
	v_add_co_ci_u32_e64 v186, null, 0, 0, s0
	v_add_co_u32 v202, s0, 0x51, v189
	v_mul_lo_u16 v40, 0xcd, v40
	v_and_b32_e32 v41, 0xff, v185
	v_add_co_ci_u32_e64 v203, null, 0, 0, s0
	v_and_b32_e32 v152, 0xff, v202
	v_lshrrev_b16 v154, 11, v40
	v_add_co_u32 v187, s0, v189, 54
	v_mul_lo_u16 v40, 0xcd, v41
	v_mul_lo_u16 v42, 0xcd, v152
	;; [unrolled: 1-line block ×3, first 2 shown]
	v_and_b32_e32 v153, 0xff, v187
	v_mov_b32_e32 v48, 5
	v_lshrrev_b16 v155, 11, v40
	v_lshrrev_b16 v40, 11, v42
	v_sub_nc_u16 v156, v189, v41
	v_mul_lo_u16 v41, 0xcd, v153
	v_add_co_ci_u32_e64 v188, null, 0, 0, s0
	v_mul_lo_u16 v40, v40, 10
	v_mul_lo_u16 v42, v155, 10
	v_lshrrev_b16 v157, 11, v41
	v_lshlrev_b16 v43, 1, v156
	v_mad_u16 v156, v154, 30, v156
	v_sub_nc_u16 v159, v202, v40
	v_sub_nc_u16 v158, v185, v42
	v_mul_lo_u16 v40, v157, 10
	v_and_b32_e32 v41, 0xfe, v43
	s_mov_b32 s0, 0xe8584caa
	v_lshlrev_b16 v49, 1, v159
	v_lshlrev_b32_sdwa v42, v48, v158 dst_sel:DWORD dst_unused:UNUSED_PAD src0_sel:DWORD src1_sel:BYTE_0
	v_sub_nc_u16 v160, v187, v40
	v_lshlrev_b32_e32 v50, 4, v41
	s_clause 0x1
	global_load_dwordx4 v[44:47], v42, s[2:3]
	global_load_dwordx4 v[40:43], v42, s[2:3] offset:16
	v_and_b32_e32 v49, 0xfe, v49
	v_lshlrev_b32_sdwa v48, v48, v160 dst_sel:DWORD dst_unused:UNUSED_PAD src0_sel:DWORD src1_sel:BYTE_0
	s_clause 0x1
	global_load_dwordx4 v[68:71], v50, s[2:3]
	global_load_dwordx4 v[64:67], v50, s[2:3] offset:16
	s_mov_b32 s1, 0x3febb67a
	s_mov_b32 s7, 0xbfebb67a
	v_lshlrev_b32_e32 v56, 4, v49
	s_clause 0x3
	global_load_dwordx4 v[52:55], v48, s[2:3]
	global_load_dwordx4 v[48:51], v48, s[2:3] offset:16
	global_load_dwordx4 v[60:63], v56, s[2:3]
	global_load_dwordx4 v[56:59], v56, s[2:3] offset:16
	s_mov_b32 s6, s0
	v_and_b32_e32 v198, 0xff, v159
	s_waitcnt vmcnt(0) lgkmcnt(0)
	s_barrier
	buffer_gl0_inv
	v_mul_f64 v[120:121], v[110:111], v[46:47]
	v_mul_f64 v[122:123], v[106:107], v[42:43]
	;; [unrolled: 1-line block ×16, first 2 shown]
	v_fma_f64 v[108:109], v[108:109], v[44:45], -v[120:121]
	v_fma_f64 v[104:105], v[104:105], v[40:41], -v[122:123]
	v_fma_f64 v[110:111], v[110:111], v[44:45], v[124:125]
	v_fma_f64 v[106:107], v[106:107], v[40:41], v[126:127]
	v_fma_f64 v[100:101], v[100:101], v[68:69], -v[128:129]
	v_fma_f64 v[88:89], v[88:89], v[64:65], -v[130:131]
	v_fma_f64 v[102:103], v[102:103], v[68:69], v[132:133]
	v_fma_f64 v[90:91], v[90:91], v[64:65], v[134:135]
	;; [unrolled: 1-line block ×4, first 2 shown]
	v_fma_f64 v[112:113], v[112:113], v[60:61], -v[144:145]
	v_fma_f64 v[116:117], v[116:117], v[56:57], -v[146:147]
	v_fma_f64 v[114:115], v[114:115], v[60:61], v[148:149]
	v_fma_f64 v[118:119], v[118:119], v[56:57], v[150:151]
	v_fma_f64 v[92:93], v[92:93], v[52:53], -v[136:137]
	v_fma_f64 v[96:97], v[96:97], v[48:49], -v[138:139]
	v_mov_b32_e32 v124, 30
	v_mul_lo_u16 v128, v155, 30
	v_mul_u32_u24_sdwa v157, v157, v124 dst_sel:DWORD dst_unused:UNUSED_PAD src0_sel:WORD_0 src1_sel:DWORD
	v_add_f64 v[130:131], v[84:85], v[108:109]
	v_add_f64 v[120:121], v[108:109], v[104:105]
	v_and_b32_e32 v161, 0xfe, v128
	v_add_f64 v[122:123], v[110:111], v[106:107]
	v_add_f64 v[134:135], v[110:111], -v[106:107]
	v_add_f64 v[124:125], v[100:101], v[88:89]
	v_add_f64 v[110:111], v[86:87], v[110:111]
	;; [unrolled: 1-line block ×3, first 2 shown]
	v_add_f64 v[108:109], v[108:109], -v[104:105]
	v_add_f64 v[132:133], v[94:95], v[98:99]
	v_add_f64 v[142:143], v[82:83], v[94:95]
	;; [unrolled: 1-line block ×10, first 2 shown]
	v_add_f64 v[154:155], v[94:95], -v[98:99]
	v_add_f64 v[102:103], v[102:103], -v[90:91]
	v_add_f64 v[100:101], v[100:101], -v[88:89]
	v_add_f64 v[114:115], v[114:115], -v[118:119]
	v_fma_f64 v[120:121], v[120:121], -0.5, v[84:85]
	v_add_f64 v[112:113], v[112:113], -v[116:117]
	v_fma_f64 v[94:95], v[122:123], -0.5, v[86:87]
	v_fma_f64 v[122:123], v[124:125], -0.5, v[76:77]
	;; [unrolled: 1-line block ×3, first 2 shown]
	v_add_f64 v[126:127], v[92:93], -v[96:97]
	v_fma_f64 v[132:133], v[132:133], -0.5, v[82:83]
	v_add_f64 v[78:79], v[142:143], v[98:99]
	v_fma_f64 v[136:137], v[136:137], -0.5, v[72:73]
	v_add_f64 v[72:73], v[130:131], v[104:105]
	;; [unrolled: 2-line block ×4, first 2 shown]
	v_add_f64 v[80:81], v[144:145], v[88:89]
	v_add_f64 v[82:83], v[146:147], v[90:91]
	;; [unrolled: 1-line block ×4, first 2 shown]
	v_fma_f64 v[84:85], v[134:135], s[0:1], v[120:121]
	v_fma_f64 v[88:89], v[134:135], s[6:7], v[120:121]
	;; [unrolled: 1-line block ×16, first 2 shown]
	v_and_b32_e32 v112, 0xff, v156
	v_add_nc_u32_sdwa v113, v161, v158 dst_sel:DWORD dst_unused:UNUSED_PAD src0_sel:DWORD src1_sel:BYTE_0
	v_add_nc_u32_sdwa v114, v157, v160 dst_sel:DWORD dst_unused:UNUSED_PAD src0_sel:DWORD src1_sel:BYTE_0
	v_lshl_add_u32 v199, v112, 4, v191
	v_lshl_add_u32 v197, v113, 4, v191
	;; [unrolled: 1-line block ×3, first 2 shown]
	ds_write_b128 v199, v[80:83]
	ds_write_b128 v199, v[92:95] offset:160
	ds_write_b128 v199, v[96:99] offset:320
	ds_write_b128 v197, v[72:75]
	ds_write_b128 v197, v[84:87] offset:160
	ds_write_b128 v197, v[88:91] offset:320
	;; [unrolled: 3-line block ×3, first 2 shown]
	s_and_saveexec_b32 s0, vcc_lo
	s_cbranch_execz .LBB0_5
; %bb.4:
	v_lshl_add_u32 v72, v198, 4, v191
	ds_write_b128 v72, v[104:107] offset:3840
	ds_write_b128 v72, v[120:123] offset:4000
	ds_write_b128 v72, v[124:127] offset:4160
.LBB0_5:
	s_or_b32 exec_lo, exec_lo, s0
	s_waitcnt lgkmcnt(0)
	s_barrier
	buffer_gl0_inv
	ds_read_b128 v[116:119], v190
	ds_read_b128 v[108:111], v190 offset:432
	ds_read_b128 v[140:143], v190 offset:2880
	ds_read_b128 v[128:131], v190 offset:3312
	ds_read_b128 v[148:151], v190 offset:1440
	ds_read_b128 v[112:115], v190 offset:864
	ds_read_b128 v[144:147], v190 offset:1872
	ds_read_b128 v[132:135], v190 offset:2304
	ds_read_b128 v[136:139], v190 offset:3744
	s_and_saveexec_b32 s0, vcc_lo
	s_cbranch_execz .LBB0_7
; %bb.6:
	ds_read_b128 v[104:107], v190 offset:1296
	ds_read_b128 v[120:123], v190 offset:2736
	;; [unrolled: 1-line block ×3, first 2 shown]
.LBB0_7:
	s_or_b32 exec_lo, exec_lo, s0
	v_add_co_u32 v72, s0, v189, -3
	v_add_co_ci_u32_e64 v73, null, 0, -1, s0
	v_cmp_gt_u16_e64 s0, 3, v189
	v_mul_lo_u16 v75, 0x89, v152
	v_mul_lo_u16 v74, 0x89, v153
	v_lshlrev_b32_e32 v206, 5, v189
	s_mov_b32 s6, 0xe8584caa
	v_cndmask_b32_e64 v160, v72, v185, s0
	v_lshrrev_b16 v72, 12, v75
	v_lshrrev_b16 v183, 12, v74
	v_cndmask_b32_e64 v161, v73, v186, s0
	s_mov_b32 s7, 0x3febb67a
	s_mov_b32 s13, 0xbfebb67a
	v_mul_lo_u16 v83, v72, 30
	v_mul_lo_u16 v82, v183, 30
	v_lshlrev_b64 v[80:81], 5, v[160:161]
	s_clause 0x1
	global_load_dwordx4 v[72:75], v206, s[2:3] offset:336
	global_load_dwordx4 v[76:79], v206, s[2:3] offset:320
	s_mov_b32 s12, s6
	v_sub_nc_u16 v83, v202, v83
	v_sub_nc_u16 v207, v187, v82
	v_mov_b32_e32 v82, 5
	v_add_co_u32 v80, s0, s2, v80
	v_and_b32_e32 v195, 0xff, v83
	v_add_co_ci_u32_e64 v81, s0, s3, v81, s0
	v_lshlrev_b32_sdwa v82, v82, v207 dst_sel:DWORD dst_unused:UNUSED_PAD src0_sel:DWORD src1_sel:BYTE_0
	s_clause 0x1
	global_load_dwordx4 v[92:95], v[80:81], off offset:320
	global_load_dwordx4 v[88:91], v[80:81], off offset:336
	v_lshlrev_b32_e32 v96, 5, v195
	s_clause 0x3
	global_load_dwordx4 v[84:87], v82, s[2:3] offset:320
	global_load_dwordx4 v[80:83], v82, s[2:3] offset:336
	;; [unrolled: 1-line block ×4, first 2 shown]
	v_mov_b32_e32 v208, 0x5a
	v_cmp_lt_u16_e64 s0, 2, v189
	s_waitcnt vmcnt(0) lgkmcnt(0)
	s_barrier
	buffer_gl0_inv
	v_mul_f64 v[154:155], v[142:143], v[74:75]
	v_mul_f64 v[152:153], v[150:151], v[78:79]
	;; [unrolled: 1-line block ×16, first 2 shown]
	v_fma_f64 v[148:149], v[148:149], v[76:77], -v[152:153]
	v_fma_f64 v[140:141], v[140:141], v[72:73], -v[154:155]
	v_fma_f64 v[150:151], v[150:151], v[76:77], v[156:157]
	v_fma_f64 v[142:143], v[142:143], v[72:73], v[158:159]
	v_fma_f64 v[144:145], v[144:145], v[92:93], -v[161:162]
	v_fma_f64 v[128:129], v[128:129], v[88:89], -v[163:164]
	v_fma_f64 v[146:147], v[146:147], v[92:93], v[165:166]
	v_fma_f64 v[130:131], v[130:131], v[88:89], v[167:168]
	;; [unrolled: 1-line block ×4, first 2 shown]
	v_fma_f64 v[120:121], v[120:121], v[100:101], -v[177:178]
	v_fma_f64 v[152:153], v[124:125], v[96:97], -v[179:180]
	v_fma_f64 v[122:123], v[122:123], v[100:101], v[181:182]
	v_fma_f64 v[154:155], v[126:127], v[96:97], v[200:201]
	v_fma_f64 v[132:133], v[132:133], v[84:85], -v[169:170]
	v_fma_f64 v[136:137], v[136:137], v[80:81], -v[171:172]
	v_add_f64 v[163:164], v[116:117], v[148:149]
	v_add_f64 v[124:125], v[148:149], v[140:141]
	v_add_f64 v[148:149], v[148:149], -v[140:141]
	v_add_f64 v[126:127], v[150:151], v[142:143]
	v_add_f64 v[167:168], v[150:151], -v[142:143]
	v_add_f64 v[150:151], v[118:119], v[150:151]
	v_add_f64 v[173:174], v[108:109], v[144:145]
	;; [unrolled: 1-line block ×7, first 2 shown]
	v_add_f64 v[181:182], v[146:147], -v[130:131]
	v_add_f64 v[169:170], v[120:121], v[152:153]
	v_add_f64 v[200:201], v[144:145], -v[128:129]
	v_add_f64 v[171:172], v[122:123], v[154:155]
	v_add_f64 v[144:145], v[104:105], v[120:121]
	;; [unrolled: 1-line block ×4, first 2 shown]
	v_fma_f64 v[124:125], v[124:125], -0.5, v[116:117]
	v_add_f64 v[204:205], v[134:135], -v[138:139]
	v_fma_f64 v[126:127], v[126:127], -0.5, v[118:119]
	v_add_f64 v[177:178], v[112:113], v[132:133]
	v_fma_f64 v[156:157], v[156:157], -0.5, v[108:109]
	v_add_f64 v[108:109], v[163:164], v[140:141]
	v_fma_f64 v[134:135], v[158:159], -0.5, v[110:111]
	v_add_f64 v[158:159], v[132:133], -v[136:137]
	v_fma_f64 v[163:164], v[165:166], -0.5, v[114:115]
	v_add_f64 v[165:166], v[122:123], -v[154:155]
	;; [unrolled: 2-line block ×3, first 2 shown]
	v_fma_f64 v[106:107], v[171:172], -0.5, v[106:107]
	v_add_f64 v[110:111], v[150:151], v[142:143]
	v_fma_f64 v[161:162], v[161:162], -0.5, v[112:113]
	v_add_f64 v[112:113], v[173:174], v[128:129]
	v_add_f64 v[118:119], v[179:180], v[138:139]
	v_fma_f64 v[120:121], v[167:168], s[6:7], v[124:125]
	v_fma_f64 v[124:125], v[167:168], s[12:13], v[124:125]
	;; [unrolled: 1-line block ×4, first 2 shown]
	v_add_f64 v[144:145], v[144:145], v[152:153]
	v_add_f64 v[146:147], v[146:147], v[154:155]
	;; [unrolled: 1-line block ×4, first 2 shown]
	ds_write_b128 v190, v[108:111]
	ds_write_b128 v190, v[120:123] offset:480
	v_fma_f64 v[128:129], v[181:182], s[6:7], v[156:157]
	v_fma_f64 v[132:133], v[181:182], s[12:13], v[156:157]
	;; [unrolled: 1-line block ×12, first 2 shown]
	v_cndmask_b32_e64 v106, 0, 0x5a, s0
	v_mul_u32_u24_sdwa v107, v183, v208 dst_sel:DWORD dst_unused:UNUSED_PAD src0_sel:WORD_0 src1_sel:DWORD
	v_add_co_u32 v104, s0, s2, v206
	v_add_co_ci_u32_e64 v105, null, s3, 0, s0
	v_add_nc_u32_e32 v106, v160, v106
	v_add_nc_u32_sdwa v107, v107, v207 dst_sel:DWORD dst_unused:UNUSED_PAD src0_sel:DWORD src1_sel:BYTE_0
	v_lshl_add_u32 v201, v106, 4, v191
	v_lshl_add_u32 v200, v107, 4, v191
	ds_write_b128 v190, v[124:127] offset:960
	ds_write_b128 v201, v[112:115]
	ds_write_b128 v201, v[128:131] offset:480
	ds_write_b128 v201, v[132:135] offset:960
	ds_write_b128 v200, v[116:119]
	ds_write_b128 v200, v[136:139] offset:480
	ds_write_b128 v200, v[140:143] offset:960
	s_and_saveexec_b32 s0, vcc_lo
	s_cbranch_execz .LBB0_9
; %bb.8:
	v_lshl_add_u32 v106, v195, 4, v191
	ds_write_b128 v106, v[144:147] offset:2880
	ds_write_b128 v106, v[152:155] offset:3360
	;; [unrolled: 1-line block ×3, first 2 shown]
.LBB0_9:
	s_or_b32 exec_lo, exec_lo, s0
	s_waitcnt lgkmcnt(0)
	s_barrier
	buffer_gl0_inv
	ds_read_b128 v[140:143], v190
	ds_read_b128 v[136:139], v190 offset:432
	ds_read_b128 v[168:171], v190 offset:2880
	;; [unrolled: 1-line block ×8, first 2 shown]
	s_and_saveexec_b32 s0, vcc_lo
	s_cbranch_execz .LBB0_11
; %bb.10:
	ds_read_b128 v[144:147], v190 offset:1296
	ds_read_b128 v[152:155], v190 offset:2736
	;; [unrolled: 1-line block ×3, first 2 shown]
.LBB0_11:
	s_or_b32 exec_lo, exec_lo, s0
	v_add_co_u32 v110, s0, v189, -9
	v_add_co_ci_u32_e64 v111, null, 0, -1, s0
	v_lshlrev_b64 v[106:107], 5, v[185:186]
	v_cndmask_b32_e32 v110, v110, v202, vcc_lo
	v_lshlrev_b64 v[108:109], 5, v[187:188]
	v_cndmask_b32_e32 v111, v111, v203, vcc_lo
	global_load_dwordx4 v[112:115], v[104:105], off offset:1280
	v_add_co_u32 v106, s0, s2, v106
	v_lshlrev_b64 v[110:111], 5, v[110:111]
	v_add_co_ci_u32_e64 v107, s0, s3, v107, s0
	v_add_co_u32 v108, s0, s2, v108
	v_add_co_ci_u32_e64 v109, s0, s3, v109, s0
	s_clause 0x3
	global_load_dwordx4 v[132:135], v[104:105], off offset:1296
	global_load_dwordx4 v[120:123], v[106:107], off offset:1296
	;; [unrolled: 1-line block ×4, first 2 shown]
	v_add_co_u32 v104, s0, s2, v110
	v_add_co_ci_u32_e64 v105, s0, s3, v111, s0
	s_clause 0x2
	global_load_dwordx4 v[124:127], v[108:109], off offset:1296
	global_load_dwordx4 v[108:111], v[104:105], off offset:1280
	;; [unrolled: 1-line block ×3, first 2 shown]
	s_mov_b32 s0, 0xe8584caa
	s_mov_b32 s1, 0x3febb67a
	;; [unrolled: 1-line block ×4, first 2 shown]
	s_waitcnt vmcnt(7) lgkmcnt(4)
	v_mul_f64 v[185:186], v[182:183], v[114:115]
	v_mul_f64 v[187:188], v[180:181], v[114:115]
	s_waitcnt vmcnt(6)
	v_mul_f64 v[202:203], v[170:171], v[134:135]
	v_mul_f64 v[204:205], v[168:169], v[134:135]
	s_waitcnt vmcnt(4) lgkmcnt(2)
	v_mul_f64 v[206:207], v[178:179], v[130:131]
	v_mul_f64 v[208:209], v[176:177], v[130:131]
	;; [unrolled: 1-line block ×4, first 2 shown]
	s_waitcnt vmcnt(3) lgkmcnt(1)
	v_mul_f64 v[214:215], v[174:175], v[118:119]
	v_mul_f64 v[216:217], v[172:173], v[118:119]
	s_waitcnt vmcnt(2) lgkmcnt(0)
	v_mul_f64 v[218:219], v[166:167], v[126:127]
	s_waitcnt vmcnt(1)
	v_mul_f64 v[222:223], v[154:155], v[110:111]
	s_waitcnt vmcnt(0)
	v_mul_f64 v[224:225], v[158:159], v[106:107]
	v_mul_f64 v[226:227], v[152:153], v[110:111]
	;; [unrolled: 1-line block ×4, first 2 shown]
	v_fma_f64 v[180:181], v[180:181], v[112:113], -v[185:186]
	v_fma_f64 v[182:183], v[182:183], v[112:113], v[187:188]
	v_fma_f64 v[168:169], v[168:169], v[132:133], -v[202:203]
	v_fma_f64 v[170:171], v[170:171], v[132:133], v[204:205]
	;; [unrolled: 2-line block ×5, first 2 shown]
	v_fma_f64 v[174:175], v[164:165], v[124:125], -v[218:219]
	v_fma_f64 v[160:161], v[152:153], v[108:109], -v[222:223]
	;; [unrolled: 1-line block ×3, first 2 shown]
	v_fma_f64 v[156:157], v[154:155], v[108:109], v[226:227]
	v_fma_f64 v[154:155], v[158:159], v[104:105], v[228:229]
	;; [unrolled: 1-line block ×3, first 2 shown]
	v_add_f64 v[214:215], v[140:141], v[180:181]
	v_add_f64 v[158:159], v[180:181], v[168:169]
	v_add_f64 v[164:165], v[182:183], v[170:171]
	v_add_f64 v[216:217], v[182:183], -v[170:171]
	v_add_f64 v[182:183], v[142:143], v[182:183]
	v_add_f64 v[166:167], v[176:177], v[185:186]
	;; [unrolled: 1-line block ×11, first 2 shown]
	v_add_f64 v[226:227], v[176:177], -v[185:186]
	v_add_f64 v[236:237], v[156:157], -v[154:155]
	;; [unrolled: 1-line block ×5, first 2 shown]
	v_fma_f64 v[140:141], v[158:159], -0.5, v[140:141]
	v_add_f64 v[158:159], v[180:181], -v[168:169]
	v_fma_f64 v[142:143], v[164:165], -0.5, v[142:143]
	v_add_f64 v[180:181], v[178:179], -v[187:188]
	v_fma_f64 v[136:137], v[166:167], -0.5, v[136:137]
	v_fma_f64 v[138:139], v[204:205], -0.5, v[138:139]
	v_add_f64 v[162:163], v[218:219], v[185:186]
	v_add_f64 v[164:165], v[220:221], v[187:188]
	v_fma_f64 v[230:231], v[206:207], -0.5, v[148:149]
	v_add_f64 v[148:149], v[214:215], v[168:169]
	v_fma_f64 v[238:239], v[210:211], -0.5, v[144:145]
	;; [unrolled: 2-line block ×3, first 2 shown]
	v_fma_f64 v[234:235], v[208:209], -0.5, v[150:151]
	v_add_f64 v[150:151], v[182:183], v[170:171]
	v_add_f64 v[168:169], v[224:225], v[202:203]
	v_lshl_add_u32 v185, v189, 4, v191
	v_fma_f64 v[170:171], v[216:217], s[0:1], v[140:141]
	v_fma_f64 v[174:175], v[216:217], s[2:3], v[140:141]
	v_fma_f64 v[172:173], v[158:159], s[2:3], v[142:143]
	v_fma_f64 v[176:177], v[158:159], s[0:1], v[142:143]
	v_fma_f64 v[178:179], v[180:181], s[0:1], v[136:137]
	v_fma_f64 v[202:203], v[180:181], s[2:3], v[136:137]
	v_fma_f64 v[180:181], v[226:227], s[2:3], v[138:139]
	v_fma_f64 v[204:205], v[226:227], s[0:1], v[138:139]
	v_fma_f64 v[206:207], v[228:229], s[0:1], v[230:231]
	v_fma_f64 v[210:211], v[228:229], s[2:3], v[230:231]
	v_fma_f64 v[136:137], v[236:237], s[0:1], v[238:239]
	v_fma_f64 v[140:141], v[236:237], s[2:3], v[238:239]
	v_fma_f64 v[138:139], v[240:241], s[2:3], v[242:243]
	v_fma_f64 v[142:143], v[240:241], s[0:1], v[242:243]
	v_fma_f64 v[208:209], v[232:233], s[2:3], v[234:235]
	v_fma_f64 v[212:213], v[232:233], s[0:1], v[234:235]
	ds_write_b128 v190, v[148:151]
	ds_write_b128 v185, v[170:173] offset:1440
	ds_write_b128 v185, v[174:177] offset:2880
	;; [unrolled: 1-line block ×8, first 2 shown]
	s_and_saveexec_b32 s0, vcc_lo
	s_cbranch_execz .LBB0_13
; %bb.12:
	v_add_f64 v[146:147], v[146:147], v[156:157]
	v_add_f64 v[144:145], v[144:145], v[160:161]
	;; [unrolled: 1-line block ×4, first 2 shown]
	ds_write_b128 v190, v[144:147] offset:1296
	ds_write_b128 v185, v[136:139] offset:2736
	;; [unrolled: 1-line block ×3, first 2 shown]
.LBB0_13:
	s_or_b32 exec_lo, exec_lo, s0
	v_add_co_u32 v144, s0, 0x1000, v193
	v_add_co_ci_u32_e64 v145, s0, 0, v194, s0
	s_waitcnt lgkmcnt(0)
	s_barrier
	buffer_gl0_inv
	global_load_dwordx4 v[144:147], v[144:145], off offset:224
	v_add_co_u32 v160, s0, 0x10e0, v193
	v_add_co_ci_u32_e64 v161, s0, 0, v194, s0
	s_clause 0x3
	global_load_dwordx4 v[148:151], v[160:161], off offset:432
	global_load_dwordx4 v[152:155], v[160:161], off offset:864
	;; [unrolled: 1-line block ×4, first 2 shown]
	v_add_co_u32 v186, s0, 0x1800, v193
	v_add_co_ci_u32_e64 v187, s0, 0, v194, s0
	s_clause 0x2
	global_load_dwordx4 v[164:167], v[186:187], off offset:336
	global_load_dwordx4 v[168:171], v[186:187], off offset:768
	;; [unrolled: 1-line block ×3, first 2 shown]
	ds_read_b128 v[176:179], v190
	ds_read_b128 v[180:183], v190 offset:432
	s_mov_b32 s12, 0x134454ff
	s_mov_b32 s13, 0xbfee6f0e
	;; [unrolled: 1-line block ×15, first 2 shown]
	s_waitcnt vmcnt(7) lgkmcnt(1)
	v_mul_f64 v[202:203], v[178:179], v[146:147]
	v_mul_f64 v[146:147], v[176:177], v[146:147]
	s_waitcnt vmcnt(6) lgkmcnt(0)
	v_mul_f64 v[206:207], v[182:183], v[150:151]
	v_mul_f64 v[150:151], v[180:181], v[150:151]
	v_fma_f64 v[176:177], v[176:177], v[144:145], -v[202:203]
	v_fma_f64 v[178:179], v[178:179], v[144:145], v[146:147]
	ds_read_b128 v[144:147], v190 offset:864
	ds_read_b128 v[202:205], v190 offset:1728
	v_fma_f64 v[180:181], v[180:181], v[148:149], -v[206:207]
	v_fma_f64 v[182:183], v[182:183], v[148:149], v[150:151]
	ds_read_b128 v[148:151], v185 offset:1296
	s_waitcnt vmcnt(5) lgkmcnt(2)
	v_mul_f64 v[208:209], v[146:147], v[154:155]
	v_mul_f64 v[154:155], v[144:145], v[154:155]
	v_fma_f64 v[144:145], v[144:145], v[152:153], -v[208:209]
	s_waitcnt vmcnt(3) lgkmcnt(1)
	v_mul_f64 v[208:209], v[204:205], v[162:163]
	v_mul_f64 v[162:163], v[202:203], v[162:163]
	v_fma_f64 v[146:147], v[146:147], v[152:153], v[154:155]
	ds_read_b128 v[152:155], v190 offset:3888
	v_fma_f64 v[202:203], v[202:203], v[160:161], -v[208:209]
	v_fma_f64 v[204:205], v[204:205], v[160:161], v[162:163]
	ds_read_b128 v[160:163], v190 offset:2592
	s_waitcnt lgkmcnt(2)
	v_mul_f64 v[206:207], v[150:151], v[158:159]
	v_mul_f64 v[158:159], v[148:149], v[158:159]
	s_waitcnt vmcnt(1) lgkmcnt(0)
	v_mul_f64 v[208:209], v[162:163], v[170:171]
	v_mul_f64 v[170:171], v[160:161], v[170:171]
	v_fma_f64 v[148:149], v[148:149], v[156:157], -v[206:207]
	v_fma_f64 v[150:151], v[150:151], v[156:157], v[158:159]
	ds_read_b128 v[156:159], v190 offset:2160
	v_fma_f64 v[160:161], v[160:161], v[168:169], -v[208:209]
	v_fma_f64 v[162:163], v[162:163], v[168:169], v[170:171]
	ds_read_b128 v[168:171], v190 offset:3456
	s_waitcnt lgkmcnt(1)
	v_mul_f64 v[206:207], v[158:159], v[166:167]
	v_mul_f64 v[166:167], v[156:157], v[166:167]
	v_fma_f64 v[156:157], v[156:157], v[164:165], -v[206:207]
	v_fma_f64 v[158:159], v[158:159], v[164:165], v[166:167]
	ds_read_b128 v[164:167], v190 offset:3024
	global_load_dwordx4 v[206:209], v[186:187], off offset:1632
	v_add_co_u32 v186, s0, 0x2000, v193
	v_add_co_ci_u32_e64 v187, s0, 0, v194, s0
	s_mov_b32 s0, s6
	s_waitcnt vmcnt(1) lgkmcnt(0)
	v_mul_f64 v[210:211], v[166:167], v[174:175]
	v_mul_f64 v[174:175], v[164:165], v[174:175]
	v_fma_f64 v[164:165], v[164:165], v[172:173], -v[210:211]
	v_fma_f64 v[166:167], v[166:167], v[172:173], v[174:175]
	global_load_dwordx4 v[172:175], v[186:187], off offset:16
	s_waitcnt vmcnt(1)
	v_mul_f64 v[186:187], v[170:171], v[208:209]
	v_mul_f64 v[193:194], v[168:169], v[208:209]
	v_fma_f64 v[168:169], v[168:169], v[206:207], -v[186:187]
	v_fma_f64 v[170:171], v[170:171], v[206:207], v[193:194]
	s_waitcnt vmcnt(0)
	v_mul_f64 v[208:209], v[154:155], v[174:175]
	v_mul_f64 v[174:175], v[152:153], v[174:175]
	v_fma_f64 v[152:153], v[152:153], v[172:173], -v[208:209]
	v_fma_f64 v[154:155], v[154:155], v[172:173], v[174:175]
	ds_write_b128 v190, v[176:179]
	ds_write_b128 v190, v[180:183] offset:432
	ds_write_b128 v190, v[144:147] offset:864
	;; [unrolled: 1-line block ×9, first 2 shown]
	s_waitcnt lgkmcnt(0)
	s_barrier
	buffer_gl0_inv
	ds_read_b128 v[144:147], v190
	ds_read_b128 v[148:151], v190 offset:864
	ds_read_b128 v[152:155], v190 offset:1728
	;; [unrolled: 1-line block ×7, first 2 shown]
	s_waitcnt lgkmcnt(6)
	v_add_f64 v[176:177], v[144:145], v[148:149]
	v_add_f64 v[178:179], v[146:147], v[150:151]
	s_waitcnt lgkmcnt(3)
	v_add_f64 v[180:181], v[152:153], v[160:161]
	s_waitcnt lgkmcnt(2)
	v_add_f64 v[182:183], v[148:149], v[164:165]
	v_add_f64 v[186:187], v[154:155], v[162:163]
	;; [unrolled: 1-line block ×3, first 2 shown]
	v_add_f64 v[204:205], v[150:151], -v[166:167]
	v_add_f64 v[206:207], v[154:155], -v[162:163]
	;; [unrolled: 1-line block ×6, first 2 shown]
	s_waitcnt lgkmcnt(0)
	v_add_f64 v[202:203], v[168:169], v[172:173]
	v_add_f64 v[210:211], v[164:165], -v[160:161]
	v_add_f64 v[218:219], v[160:161], -v[164:165]
	;; [unrolled: 1-line block ×3, first 2 shown]
	v_add_f64 v[176:177], v[176:177], v[152:153]
	v_add_f64 v[178:179], v[178:179], v[154:155]
	v_fma_f64 v[180:181], v[180:181], -0.5, v[144:145]
	v_fma_f64 v[182:183], v[182:183], -0.5, v[144:145]
	;; [unrolled: 1-line block ×4, first 2 shown]
	v_add_f64 v[154:155], v[154:155], -v[150:151]
	ds_read_b128 v[144:147], v185 offset:1296
	ds_read_b128 v[148:151], v190 offset:3888
	v_add_f64 v[152:153], v[152:153], -v[160:161]
	s_waitcnt lgkmcnt(0)
	s_barrier
	buffer_gl0_inv
	v_fma_f64 v[202:203], v[202:203], -0.5, v[156:157]
	v_add_f64 v[176:177], v[176:177], v[160:161]
	v_add_f64 v[178:179], v[178:179], v[162:163]
	v_add_f64 v[160:161], v[166:167], -v[162:163]
	v_add_f64 v[162:163], v[162:163], -v[166:167]
	;; [unrolled: 1-line block ×3, first 2 shown]
	v_add_f64 v[220:221], v[146:147], v[150:151]
	v_add_f64 v[232:233], v[150:151], -v[174:175]
	v_add_f64 v[224:225], v[144:145], -v[168:169]
	;; [unrolled: 1-line block ×4, first 2 shown]
	v_add_f64 v[164:165], v[176:177], v[164:165]
	v_add_f64 v[166:167], v[178:179], v[166:167]
	;; [unrolled: 1-line block ×5, first 2 shown]
	v_fma_f64 v[220:221], v[220:221], -0.5, v[158:159]
	v_add_f64 v[160:161], v[216:217], v[160:161]
	v_add_f64 v[162:163], v[224:225], v[230:231]
	v_fma_f64 v[176:177], v[176:177], -0.5, v[156:157]
	v_fma_f64 v[178:179], v[178:179], -0.5, v[158:159]
	v_add_f64 v[156:157], v[156:157], v[144:145]
	v_add_f64 v[158:159], v[158:159], v[146:147]
	v_add_f64 v[144:145], v[144:145], -v[148:149]
	v_add_f64 v[156:157], v[156:157], v[168:169]
	v_add_f64 v[158:159], v[158:159], v[170:171]
	v_add_f64 v[170:171], v[170:171], -v[146:147]
	v_add_f64 v[168:169], v[168:169], -v[172:173]
	;; [unrolled: 1-line block ×3, first 2 shown]
	v_add_f64 v[156:157], v[156:157], v[172:173]
	v_add_f64 v[158:159], v[158:159], v[174:175]
	v_add_f64 v[174:175], v[174:175], -v[150:151]
	v_add_f64 v[172:173], v[172:173], -v[148:149]
	v_add_f64 v[156:157], v[156:157], v[148:149]
	v_add_f64 v[148:149], v[208:209], v[210:211]
	;; [unrolled: 1-line block ×3, first 2 shown]
	v_fma_f64 v[174:175], v[204:205], s[12:13], v[180:181]
	v_fma_f64 v[180:181], v[204:205], s[2:3], v[180:181]
	;; [unrolled: 1-line block ×4, first 2 shown]
	v_add_f64 v[158:159], v[158:159], v[150:151]
	v_add_f64 v[150:151], v[212:213], v[218:219]
	v_fma_f64 v[212:213], v[168:169], s[2:3], v[220:221]
	v_add_f64 v[208:209], v[228:229], v[232:233]
	v_add_f64 v[172:173], v[226:227], v[172:173]
	v_fma_f64 v[174:175], v[206:207], s[6:7], v[174:175]
	v_fma_f64 v[180:181], v[206:207], s[0:1], v[180:181]
	;; [unrolled: 1-line block ×18, first 2 shown]
	v_add_f64 v[150:151], v[166:167], v[158:159]
	v_fma_f64 v[168:169], v[208:209], s[14:15], v[168:169]
	v_fma_f64 v[210:211], v[222:223], s[6:7], v[210:211]
	;; [unrolled: 1-line block ×14, first 2 shown]
	v_mul_f64 v[210:211], v[176:177], s[12:13]
	v_fma_f64 v[170:171], v[152:153], s[0:1], v[170:171]
	v_fma_f64 v[152:153], v[152:153], s[6:7], v[178:179]
	v_mul_f64 v[176:177], v[176:177], s[14:15]
	v_fma_f64 v[178:179], v[214:215], s[0:1], v[204:205]
	v_fma_f64 v[204:205], v[148:149], s[14:15], v[180:181]
	;; [unrolled: 1-line block ×3, first 2 shown]
	v_mul_f64 v[180:181], v[186:187], s[6:7]
	v_fma_f64 v[193:194], v[214:215], s[6:7], v[193:194]
	v_mul_f64 v[172:173], v[144:145], s[12:13]
	v_mul_f64 v[144:145], v[144:145], s[18:19]
	v_fma_f64 v[162:163], v[162:163], s[14:15], v[202:203]
	v_mul_f64 v[202:203], v[168:169], s[6:7]
	v_mul_f64 v[168:169], v[168:169], s[20:21]
	v_mul_f64 v[212:213], v[208:209], s[0:1]
	v_fma_f64 v[170:171], v[160:161], s[14:15], v[170:171]
	v_fma_f64 v[178:179], v[154:155], s[14:15], v[178:179]
	;; [unrolled: 1-line block ×10, first 2 shown]
	v_add_f64 v[148:149], v[164:165], v[156:157]
	v_add_f64 v[154:155], v[166:167], -v[158:159]
	v_fma_f64 v[186:187], v[186:187], s[16:17], v[212:213]
	v_fma_f64 v[212:213], v[160:161], s[14:15], v[152:153]
	v_add_f64 v[152:153], v[164:165], -v[156:157]
	v_add_f64 v[162:163], v[178:179], v[176:177]
	v_add_f64 v[156:157], v[174:175], v[180:181]
	;; [unrolled: 1-line block ×4, first 2 shown]
	v_add_f64 v[164:165], v[174:175], -v[180:181]
	v_add_f64 v[174:175], v[178:179], -v[176:177]
	v_add_f64 v[176:177], v[204:205], v[202:203]
	v_add_f64 v[172:173], v[206:207], -v[208:209]
	v_add_f64 v[180:181], v[182:183], -v[210:211]
	;; [unrolled: 1-line block ×4, first 2 shown]
	v_add_f64 v[158:159], v[170:171], v[186:187]
	v_add_f64 v[166:167], v[170:171], -v[186:187]
	v_add_f64 v[170:171], v[193:194], v[146:147]
	v_add_f64 v[178:179], v[212:213], v[214:215]
	v_add_f64 v[146:147], v[212:213], -v[214:215]
	ds_write_b128 v192, v[148:151]
	ds_write_b128 v192, v[152:155] offset:80
	ds_write_b128 v192, v[156:159] offset:16
	;; [unrolled: 1-line block ×9, first 2 shown]
	s_waitcnt lgkmcnt(0)
	s_barrier
	buffer_gl0_inv
	ds_read_b128 v[148:151], v190
	ds_read_b128 v[152:155], v190 offset:432
	ds_read_b128 v[160:163], v190 offset:2880
	;; [unrolled: 1-line block ×8, first 2 shown]
	s_and_saveexec_b32 s0, vcc_lo
	s_cbranch_execz .LBB0_15
; %bb.14:
	ds_read_b128 v[144:147], v185 offset:1296
	ds_read_b128 v[136:139], v190 offset:2736
	;; [unrolled: 1-line block ×3, first 2 shown]
.LBB0_15:
	s_or_b32 exec_lo, exec_lo, s0
	s_waitcnt lgkmcnt(4)
	v_mul_f64 v[186:187], v[70:71], v[182:183]
	v_mul_f64 v[70:71], v[70:71], v[180:181]
	v_mul_f64 v[192:193], v[66:67], v[162:163]
	v_mul_f64 v[66:67], v[66:67], v[160:161]
	s_waitcnt lgkmcnt(2)
	v_mul_f64 v[202:203], v[46:47], v[178:179]
	v_mul_f64 v[204:205], v[42:43], v[166:167]
	;; [unrolled: 1-line block ×4, first 2 shown]
	s_waitcnt lgkmcnt(1)
	v_mul_f64 v[206:207], v[54:55], v[170:171]
	s_waitcnt lgkmcnt(0)
	v_mul_f64 v[208:209], v[50:51], v[174:175]
	v_mul_f64 v[54:55], v[54:55], v[168:169]
	v_mul_f64 v[50:51], v[50:51], v[172:173]
	v_mul_f64 v[210:211], v[62:63], v[138:139]
	v_mul_f64 v[212:213], v[58:59], v[142:143]
	v_mul_f64 v[62:63], v[62:63], v[136:137]
	v_mul_f64 v[58:59], v[58:59], v[140:141]
	s_mov_b32 s0, 0xe8584caa
	s_mov_b32 s1, 0xbfebb67a
	s_mov_b32 s3, 0x3febb67a
	s_mov_b32 s2, s0
	s_barrier
	v_fma_f64 v[180:181], v[68:69], v[180:181], v[186:187]
	v_fma_f64 v[68:69], v[68:69], v[182:183], -v[70:71]
	v_fma_f64 v[70:71], v[64:65], v[160:161], v[192:193]
	v_fma_f64 v[64:65], v[64:65], v[162:163], -v[66:67]
	v_fma_f64 v[66:67], v[44:45], v[176:177], v[202:203]
	v_fma_f64 v[160:161], v[40:41], v[164:165], v[204:205]
	v_fma_f64 v[44:45], v[44:45], v[178:179], -v[46:47]
	v_fma_f64 v[40:41], v[40:41], v[166:167], -v[42:43]
	v_fma_f64 v[42:43], v[52:53], v[168:169], v[206:207]
	v_fma_f64 v[162:163], v[48:49], v[172:173], v[208:209]
	v_fma_f64 v[46:47], v[52:53], v[170:171], -v[54:55]
	;; [unrolled: 4-line block ×3, first 2 shown]
	v_fma_f64 v[56:57], v[56:57], v[142:143], -v[58:59]
	buffer_gl0_inv
	v_add_f64 v[140:141], v[148:149], v[180:181]
	v_add_f64 v[52:53], v[180:181], v[70:71]
	;; [unrolled: 1-line block ×3, first 2 shown]
	v_add_f64 v[164:165], v[68:69], -v[64:65]
	v_add_f64 v[60:61], v[66:67], v[160:161]
	v_add_f64 v[68:69], v[150:151], v[68:69]
	v_add_f64 v[62:63], v[44:45], v[40:41]
	v_add_f64 v[170:171], v[180:181], -v[70:71]
	v_add_f64 v[138:139], v[42:43], v[162:163]
	v_add_f64 v[174:175], v[154:155], v[44:45]
	;; [unrolled: 1-line block ×7, first 2 shown]
	v_add_f64 v[186:187], v[44:45], -v[40:41]
	v_add_f64 v[192:193], v[50:51], -v[56:57]
	;; [unrolled: 1-line block ×3, first 2 shown]
	v_add_f64 v[172:173], v[152:153], v[66:67]
	v_add_f64 v[176:177], v[156:157], v[42:43]
	;; [unrolled: 1-line block ×4, first 2 shown]
	v_fma_f64 v[148:149], v[52:53], -0.5, v[148:149]
	v_fma_f64 v[58:59], v[58:59], -0.5, v[150:151]
	v_add_f64 v[150:151], v[66:67], -v[160:161]
	v_fma_f64 v[60:61], v[60:61], -0.5, v[152:153]
	v_add_f64 v[152:153], v[46:47], -v[54:55]
	;; [unrolled: 2-line block ×3, first 2 shown]
	v_fma_f64 v[156:157], v[138:139], -0.5, v[156:157]
	v_add_f64 v[46:47], v[68:69], v[64:65]
	v_fma_f64 v[158:159], v[142:143], -0.5, v[158:159]
	v_add_f64 v[50:51], v[174:175], v[40:41]
	;; [unrolled: 2-line block ×4, first 2 shown]
	v_add_f64 v[48:49], v[172:173], v[160:161]
	v_add_f64 v[52:53], v[176:177], v[162:163]
	;; [unrolled: 1-line block ×3, first 2 shown]
	v_fma_f64 v[64:65], v[164:165], s[0:1], v[148:149]
	v_fma_f64 v[66:67], v[170:171], s[2:3], v[58:59]
	;; [unrolled: 1-line block ×16, first 2 shown]
	ds_write_b128 v199, v[44:47]
	ds_write_b128 v199, v[64:67] offset:160
	ds_write_b128 v199, v[68:71] offset:320
	ds_write_b128 v197, v[48:51]
	ds_write_b128 v197, v[136:139] offset:160
	ds_write_b128 v197, v[140:143] offset:320
	;; [unrolled: 3-line block ×3, first 2 shown]
	s_and_saveexec_b32 s0, vcc_lo
	s_cbranch_execz .LBB0_17
; %bb.16:
	v_lshl_add_u32 v44, v198, 4, v191
	ds_write_b128 v44, v[40:43] offset:3840
	ds_write_b128 v44, v[56:59] offset:4000
	;; [unrolled: 1-line block ×3, first 2 shown]
.LBB0_17:
	s_or_b32 exec_lo, exec_lo, s0
	s_waitcnt lgkmcnt(0)
	s_barrier
	buffer_gl0_inv
	ds_read_b128 v[48:51], v190
	ds_read_b128 v[44:47], v190 offset:432
	ds_read_b128 v[140:143], v190 offset:2880
	;; [unrolled: 1-line block ×8, first 2 shown]
	s_and_saveexec_b32 s0, vcc_lo
	s_cbranch_execz .LBB0_19
; %bb.18:
	ds_read_b128 v[40:43], v185 offset:1296
	ds_read_b128 v[56:59], v190 offset:2736
	;; [unrolled: 1-line block ×3, first 2 shown]
.LBB0_19:
	s_or_b32 exec_lo, exec_lo, s0
	s_waitcnt lgkmcnt(4)
	v_mul_f64 v[152:153], v[78:79], v[150:151]
	v_mul_f64 v[78:79], v[78:79], v[148:149]
	;; [unrolled: 1-line block ×4, first 2 shown]
	s_waitcnt lgkmcnt(2)
	v_mul_f64 v[156:157], v[94:95], v[146:147]
	v_mul_f64 v[158:159], v[90:91], v[66:67]
	;; [unrolled: 1-line block ×4, first 2 shown]
	s_waitcnt lgkmcnt(1)
	v_mul_f64 v[160:161], v[86:87], v[70:71]
	s_waitcnt lgkmcnt(0)
	v_mul_f64 v[162:163], v[82:83], v[138:139]
	v_mul_f64 v[86:87], v[86:87], v[68:69]
	;; [unrolled: 1-line block ×7, first 2 shown]
	s_mov_b32 s0, 0xe8584caa
	s_mov_b32 s1, 0xbfebb67a
	;; [unrolled: 1-line block ×3, first 2 shown]
	s_barrier
	buffer_gl0_inv
	v_fma_f64 v[148:149], v[76:77], v[148:149], v[152:153]
	v_fma_f64 v[76:77], v[76:77], v[150:151], -v[78:79]
	v_fma_f64 v[78:79], v[72:73], v[140:141], v[154:155]
	v_fma_f64 v[72:73], v[72:73], v[142:143], -v[74:75]
	v_fma_f64 v[74:75], v[92:93], v[144:145], v[156:157]
	v_fma_f64 v[64:65], v[88:89], v[64:65], v[158:159]
	v_fma_f64 v[92:93], v[92:93], v[146:147], -v[94:95]
	v_fma_f64 v[66:67], v[88:89], v[66:67], -v[90:91]
	v_fma_f64 v[68:69], v[84:85], v[68:69], v[160:161]
	v_fma_f64 v[88:89], v[80:81], v[136:137], v[162:163]
	v_fma_f64 v[70:71], v[84:85], v[70:71], -v[86:87]
	;; [unrolled: 4-line block ×3, first 2 shown]
	v_fma_f64 v[84:85], v[96:97], v[62:63], -v[98:99]
	v_add_f64 v[96:97], v[48:49], v[148:149]
	v_add_f64 v[60:61], v[148:149], v[78:79]
	v_add_f64 v[62:63], v[76:77], v[72:73]
	v_add_f64 v[100:101], v[76:77], -v[72:73]
	v_add_f64 v[86:87], v[74:75], v[64:65]
	v_add_f64 v[76:77], v[50:51], v[76:77]
	;; [unrolled: 1-line block ×3, first 2 shown]
	v_add_f64 v[138:139], v[148:149], -v[78:79]
	v_add_f64 v[94:95], v[68:69], v[88:89]
	v_add_f64 v[140:141], v[44:45], v[74:75]
	;; [unrolled: 1-line block ×9, first 2 shown]
	v_add_f64 v[92:93], v[92:93], -v[66:67]
	v_add_f64 v[152:153], v[74:75], -v[64:65]
	;; [unrolled: 1-line block ×4, first 2 shown]
	v_add_f64 v[146:147], v[54:55], v[70:71]
	v_fma_f64 v[48:49], v[60:61], -0.5, v[48:49]
	v_fma_f64 v[50:51], v[62:63], -0.5, v[50:51]
	;; [unrolled: 1-line block ×3, first 2 shown]
	v_add_f64 v[86:87], v[70:71], -v[80:81]
	v_fma_f64 v[46:47], v[90:91], -0.5, v[46:47]
	v_add_f64 v[90:91], v[68:69], -v[88:89]
	v_fma_f64 v[94:95], v[94:95], -0.5, v[52:53]
	v_add_f64 v[52:53], v[96:97], v[78:79]
	v_fma_f64 v[98:99], v[98:99], -0.5, v[54:55]
	v_add_f64 v[54:55], v[76:77], v[72:73]
	;; [unrolled: 2-line block ×4, first 2 shown]
	v_add_f64 v[40:41], v[148:149], v[82:83]
	v_add_f64 v[42:43], v[150:151], v[84:85]
	;; [unrolled: 1-line block ×4, first 2 shown]
	v_fma_f64 v[64:65], v[100:101], s[0:1], v[48:49]
	v_fma_f64 v[68:69], v[100:101], s[2:3], v[48:49]
	v_fma_f64 v[66:67], v[138:139], s[2:3], v[50:51]
	v_fma_f64 v[70:71], v[138:139], s[0:1], v[50:51]
	v_fma_f64 v[72:73], v[92:93], s[0:1], v[44:45]
	v_fma_f64 v[76:77], v[92:93], s[2:3], v[44:45]
	v_fma_f64 v[74:75], v[152:153], s[2:3], v[46:47]
	v_fma_f64 v[78:79], v[152:153], s[0:1], v[46:47]
	v_fma_f64 v[80:81], v[86:87], s[0:1], v[94:95]
	v_fma_f64 v[82:83], v[90:91], s[2:3], v[98:99]
	v_fma_f64 v[84:85], v[86:87], s[2:3], v[94:95]
	v_fma_f64 v[44:45], v[154:155], s[0:1], v[102:103]
	v_fma_f64 v[48:49], v[154:155], s[2:3], v[102:103]
	v_fma_f64 v[46:47], v[156:157], s[2:3], v[96:97]
	v_fma_f64 v[50:51], v[156:157], s[0:1], v[96:97]
	v_fma_f64 v[86:87], v[90:91], s[0:1], v[98:99]
	ds_write_b128 v190, v[52:55]
	ds_write_b128 v190, v[64:67] offset:480
	ds_write_b128 v190, v[68:71] offset:960
	ds_write_b128 v201, v[56:59]
	ds_write_b128 v201, v[72:75] offset:480
	ds_write_b128 v201, v[76:79] offset:960
	;; [unrolled: 3-line block ×3, first 2 shown]
	s_and_saveexec_b32 s0, vcc_lo
	s_cbranch_execz .LBB0_21
; %bb.20:
	v_lshl_add_u32 v52, v195, 4, v191
	ds_write_b128 v52, v[40:43] offset:2880
	ds_write_b128 v52, v[44:47] offset:3360
	;; [unrolled: 1-line block ×3, first 2 shown]
.LBB0_21:
	s_or_b32 exec_lo, exec_lo, s0
	s_waitcnt lgkmcnt(0)
	s_barrier
	buffer_gl0_inv
	ds_read_b128 v[60:63], v190
	ds_read_b128 v[52:55], v190 offset:432
	ds_read_b128 v[76:79], v190 offset:2880
	;; [unrolled: 1-line block ×8, first 2 shown]
	v_add_nc_u32_e32 v88, 0x360, v190
	s_and_saveexec_b32 s0, vcc_lo
	s_cbranch_execz .LBB0_23
; %bb.22:
	ds_read_b128 v[40:43], v185 offset:1296
	ds_read_b128 v[44:47], v190 offset:2736
	;; [unrolled: 1-line block ×3, first 2 shown]
.LBB0_23:
	s_or_b32 exec_lo, exec_lo, s0
	s_waitcnt lgkmcnt(4)
	v_mul_f64 v[89:90], v[114:115], v[86:87]
	v_mul_f64 v[91:92], v[134:135], v[78:79]
	;; [unrolled: 1-line block ×4, first 2 shown]
	s_waitcnt lgkmcnt(2)
	v_mul_f64 v[97:98], v[130:131], v[82:83]
	v_mul_f64 v[99:100], v[122:123], v[66:67]
	;; [unrolled: 1-line block ×4, first 2 shown]
	s_waitcnt lgkmcnt(1)
	v_mul_f64 v[122:123], v[118:119], v[70:71]
	s_waitcnt lgkmcnt(0)
	v_mul_f64 v[130:131], v[126:127], v[74:75]
	v_mul_f64 v[118:119], v[118:119], v[68:69]
	;; [unrolled: 1-line block ×3, first 2 shown]
	s_mov_b32 s0, 0xe8584caa
	s_mov_b32 s1, 0xbfebb67a
	s_mov_b32 s2, s0
	v_fma_f64 v[84:85], v[112:113], v[84:85], v[89:90]
	v_fma_f64 v[76:77], v[132:133], v[76:77], v[91:92]
	v_fma_f64 v[86:87], v[112:113], v[86:87], -v[93:94]
	v_fma_f64 v[78:79], v[132:133], v[78:79], -v[95:96]
	v_fma_f64 v[80:81], v[128:129], v[80:81], v[97:98]
	v_fma_f64 v[64:65], v[120:121], v[64:65], v[99:100]
	v_fma_f64 v[82:83], v[128:129], v[82:83], -v[101:102]
	v_fma_f64 v[66:67], v[120:121], v[66:67], -v[114:115]
	;; [unrolled: 4-line block ×3, first 2 shown]
	v_add_f64 v[101:102], v[60:61], v[84:85]
	v_add_f64 v[89:90], v[84:85], v[76:77]
	v_add_f64 v[84:85], v[84:85], -v[76:77]
	v_add_f64 v[91:92], v[86:87], v[78:79]
	v_add_f64 v[112:113], v[86:87], -v[78:79]
	v_add_f64 v[93:94], v[80:81], v[64:65]
	v_add_f64 v[86:87], v[62:63], v[86:87]
	;; [unrolled: 1-line block ×9, first 2 shown]
	v_add_f64 v[82:83], v[82:83], -v[66:67]
	v_add_f64 v[80:81], v[80:81], -v[64:65]
	;; [unrolled: 1-line block ×4, first 2 shown]
	v_fma_f64 v[89:90], v[89:90], -0.5, v[60:61]
	v_fma_f64 v[91:92], v[91:92], -0.5, v[62:63]
	;; [unrolled: 1-line block ×3, first 2 shown]
	v_add_f64 v[52:53], v[101:102], v[76:77]
	v_fma_f64 v[95:96], v[95:96], -0.5, v[54:55]
	v_add_f64 v[54:55], v[86:87], v[78:79]
	v_fma_f64 v[97:98], v[97:98], -0.5, v[56:57]
	v_add_f64 v[56:57], v[114:115], v[64:65]
	v_fma_f64 v[99:100], v[99:100], -0.5, v[58:59]
	v_add_f64 v[58:59], v[116:117], v[66:67]
	v_add_f64 v[60:61], v[118:119], v[72:73]
	;; [unrolled: 1-line block ×3, first 2 shown]
	v_fma_f64 v[64:65], v[112:113], s[0:1], v[89:90]
	v_fma_f64 v[68:69], v[112:113], s[2:3], v[89:90]
	;; [unrolled: 1-line block ×12, first 2 shown]
	ds_write_b128 v190, v[52:55]
	ds_write_b128 v185, v[64:67] offset:1440
	ds_write_b128 v185, v[68:71] offset:2880
	;; [unrolled: 1-line block ×8, first 2 shown]
	s_and_saveexec_b32 s6, vcc_lo
	s_cbranch_execz .LBB0_25
; %bb.24:
	v_mul_f64 v[52:53], v[110:111], v[44:45]
	v_mul_f64 v[54:55], v[106:107], v[48:49]
	;; [unrolled: 1-line block ×4, first 2 shown]
	v_fma_f64 v[46:47], v[108:109], v[46:47], -v[52:53]
	v_fma_f64 v[50:51], v[104:105], v[50:51], -v[54:55]
	v_fma_f64 v[44:45], v[108:109], v[44:45], v[56:57]
	v_fma_f64 v[48:49], v[104:105], v[48:49], v[58:59]
	v_add_f64 v[58:59], v[42:43], v[46:47]
	v_add_f64 v[52:53], v[46:47], v[50:51]
	v_add_f64 v[60:61], v[46:47], -v[50:51]
	v_add_f64 v[54:55], v[44:45], v[48:49]
	v_add_f64 v[56:57], v[44:45], -v[48:49]
	v_add_f64 v[44:45], v[40:41], v[44:45]
	v_fma_f64 v[52:53], v[52:53], -0.5, v[42:43]
	v_add_f64 v[42:43], v[58:59], v[50:51]
	v_fma_f64 v[54:55], v[54:55], -0.5, v[40:41]
	v_add_f64 v[40:41], v[44:45], v[48:49]
	v_fma_f64 v[50:51], v[56:57], s[2:3], v[52:53]
	v_fma_f64 v[46:47], v[56:57], s[0:1], v[52:53]
	;; [unrolled: 1-line block ×4, first 2 shown]
	ds_write_b128 v185, v[40:43] offset:1296
	ds_write_b128 v185, v[48:51] offset:2736
	;; [unrolled: 1-line block ×3, first 2 shown]
.LBB0_25:
	s_or_b32 exec_lo, exec_lo, s6
	s_waitcnt lgkmcnt(0)
	s_barrier
	buffer_gl0_inv
	ds_read_b128 v[40:43], v190
	ds_read_b128 v[44:47], v190 offset:432
	ds_read_b128 v[48:51], v190 offset:864
	v_mad_u64_u32 v[80:81], null, s10, v184, 0
	v_mad_u64_u32 v[82:83], null, s8, v189, 0
	ds_read_b128 v[52:55], v185 offset:1296
	ds_read_b128 v[56:59], v190 offset:1728
	;; [unrolled: 1-line block ×7, first 2 shown]
	s_mov_b32 s0, 0xc901e574
	s_mov_b32 s1, 0x3f6e573a
	s_mul_i32 s3, s9, 0x1b0
	s_mul_hi_u32 s6, s8, 0x1b0
	s_mul_i32 s2, s8, 0x1b0
	v_mad_u64_u32 v[88:89], null, s11, v184, v[81:82]
	s_add_i32 s6, s6, s3
	s_waitcnt lgkmcnt(9)
	v_mul_f64 v[84:85], v[2:3], v[42:43]
	v_mul_f64 v[2:3], v[2:3], v[40:41]
	s_waitcnt lgkmcnt(8)
	v_mul_f64 v[86:87], v[6:7], v[46:47]
	v_mul_f64 v[6:7], v[6:7], v[44:45]
	v_mov_b32_e32 v81, v88
	s_waitcnt lgkmcnt(2)
	v_mul_f64 v[92:93], v[34:35], v[70:71]
	v_mul_f64 v[34:35], v[34:35], v[68:69]
	s_waitcnt lgkmcnt(1)
	v_mul_f64 v[94:95], v[30:31], v[74:75]
	v_mul_f64 v[30:31], v[30:31], v[72:73]
	v_lshlrev_b64 v[80:81], 4, v[80:81]
	s_waitcnt lgkmcnt(0)
	v_mul_f64 v[96:97], v[38:39], v[78:79]
	v_mul_f64 v[38:39], v[38:39], v[76:77]
	v_fma_f64 v[40:41], v[0:1], v[40:41], v[84:85]
	v_fma_f64 v[2:3], v[0:1], v[42:43], -v[2:3]
	v_fma_f64 v[42:43], v[4:5], v[44:45], v[86:87]
	v_fma_f64 v[6:7], v[4:5], v[46:47], -v[6:7]
	v_mad_u64_u32 v[89:90], null, s9, v189, v[83:84]
	v_mul_f64 v[90:91], v[10:11], v[50:51]
	v_mul_f64 v[10:11], v[10:11], v[48:49]
	;; [unrolled: 1-line block ×8, first 2 shown]
	v_mov_b32_e32 v83, v89
	v_mul_f64 v[86:87], v[26:27], v[66:67]
	v_mul_f64 v[26:27], v[26:27], v[64:65]
	;; [unrolled: 1-line block ×6, first 2 shown]
	v_add_co_u32 v42, vcc_lo, s4, v80
	v_fma_f64 v[48:49], v[8:9], v[48:49], v[90:91]
	v_fma_f64 v[10:11], v[8:9], v[50:51], -v[10:11]
	v_lshlrev_b64 v[8:9], 4, v[82:83]
	v_add_co_ci_u32_e32 v43, vcc_lo, s5, v81, vcc_lo
	v_fma_f64 v[40:41], v[12:13], v[52:53], v[44:45]
	v_fma_f64 v[12:13], v[12:13], v[54:55], -v[14:15]
	v_fma_f64 v[44:45], v[16:17], v[56:57], v[46:47]
	v_add_co_u32 v14, vcc_lo, v42, v8
	v_add_co_ci_u32_e32 v15, vcc_lo, v43, v9, vcc_lo
	v_fma_f64 v[16:17], v[16:17], v[58:59], -v[18:19]
	v_add_co_u32 v42, vcc_lo, v14, s2
	v_add_co_ci_u32_e32 v43, vcc_lo, s6, v15, vcc_lo
	global_store_dwordx4 v[14:15], v[0:3], off
	global_store_dwordx4 v[42:43], v[4:7], off
	v_fma_f64 v[14:15], v[20:21], v[60:61], v[84:85]
	v_fma_f64 v[18:19], v[20:21], v[62:63], -v[22:23]
	v_fma_f64 v[20:21], v[24:25], v[64:65], v[86:87]
	v_fma_f64 v[22:23], v[24:25], v[66:67], -v[26:27]
	;; [unrolled: 2-line block ×5, first 2 shown]
	v_add_co_u32 v42, vcc_lo, v42, s2
	v_add_co_ci_u32_e32 v43, vcc_lo, s6, v43, vcc_lo
	v_mul_f64 v[8:9], v[48:49], s[0:1]
	v_mul_f64 v[10:11], v[10:11], s[0:1]
	v_add_co_u32 v36, vcc_lo, v42, s2
	v_add_co_ci_u32_e32 v37, vcc_lo, s6, v43, vcc_lo
	v_mul_f64 v[0:1], v[40:41], s[0:1]
	v_mul_f64 v[2:3], v[12:13], s[0:1]
	v_add_co_u32 v38, vcc_lo, v36, s2
	v_add_co_ci_u32_e32 v39, vcc_lo, s6, v37, vcc_lo
	v_mul_f64 v[4:5], v[44:45], s[0:1]
	v_add_co_u32 v40, vcc_lo, v38, s2
	v_mul_f64 v[6:7], v[16:17], s[0:1]
	v_mul_f64 v[12:13], v[14:15], s[0:1]
	;; [unrolled: 1-line block ×3, first 2 shown]
	v_add_co_ci_u32_e32 v41, vcc_lo, s6, v39, vcc_lo
	v_mul_f64 v[16:17], v[20:21], s[0:1]
	v_mul_f64 v[18:19], v[22:23], s[0:1]
	;; [unrolled: 1-line block ×8, first 2 shown]
	v_add_co_u32 v32, vcc_lo, v40, s2
	v_add_co_ci_u32_e32 v33, vcc_lo, s6, v41, vcc_lo
	global_store_dwordx4 v[42:43], v[8:11], off
	v_add_co_u32 v8, vcc_lo, v32, s2
	v_add_co_ci_u32_e32 v9, vcc_lo, s6, v33, vcc_lo
	global_store_dwordx4 v[36:37], v[0:3], off
	;; [unrolled: 3-line block ×4, first 2 shown]
	global_store_dwordx4 v[32:33], v[16:19], off
	global_store_dwordx4 v[8:9], v[20:23], off
	;; [unrolled: 1-line block ×4, first 2 shown]
.LBB0_26:
	s_endpgm
	.section	.rodata,"a",@progbits
	.p2align	6, 0x0
	.amdhsa_kernel bluestein_single_fwd_len270_dim1_dp_op_CI_CI
		.amdhsa_group_segment_fixed_size 17280
		.amdhsa_private_segment_fixed_size 0
		.amdhsa_kernarg_size 104
		.amdhsa_user_sgpr_count 6
		.amdhsa_user_sgpr_private_segment_buffer 1
		.amdhsa_user_sgpr_dispatch_ptr 0
		.amdhsa_user_sgpr_queue_ptr 0
		.amdhsa_user_sgpr_kernarg_segment_ptr 1
		.amdhsa_user_sgpr_dispatch_id 0
		.amdhsa_user_sgpr_flat_scratch_init 0
		.amdhsa_user_sgpr_private_segment_size 0
		.amdhsa_wavefront_size32 1
		.amdhsa_uses_dynamic_stack 0
		.amdhsa_system_sgpr_private_segment_wavefront_offset 0
		.amdhsa_system_sgpr_workgroup_id_x 1
		.amdhsa_system_sgpr_workgroup_id_y 0
		.amdhsa_system_sgpr_workgroup_id_z 0
		.amdhsa_system_sgpr_workgroup_info 0
		.amdhsa_system_vgpr_workitem_id 0
		.amdhsa_next_free_vgpr 244
		.amdhsa_next_free_sgpr 22
		.amdhsa_reserve_vcc 1
		.amdhsa_reserve_flat_scratch 0
		.amdhsa_float_round_mode_32 0
		.amdhsa_float_round_mode_16_64 0
		.amdhsa_float_denorm_mode_32 3
		.amdhsa_float_denorm_mode_16_64 3
		.amdhsa_dx10_clamp 1
		.amdhsa_ieee_mode 1
		.amdhsa_fp16_overflow 0
		.amdhsa_workgroup_processor_mode 1
		.amdhsa_memory_ordered 1
		.amdhsa_forward_progress 0
		.amdhsa_shared_vgpr_count 0
		.amdhsa_exception_fp_ieee_invalid_op 0
		.amdhsa_exception_fp_denorm_src 0
		.amdhsa_exception_fp_ieee_div_zero 0
		.amdhsa_exception_fp_ieee_overflow 0
		.amdhsa_exception_fp_ieee_underflow 0
		.amdhsa_exception_fp_ieee_inexact 0
		.amdhsa_exception_int_div_zero 0
	.end_amdhsa_kernel
	.text
.Lfunc_end0:
	.size	bluestein_single_fwd_len270_dim1_dp_op_CI_CI, .Lfunc_end0-bluestein_single_fwd_len270_dim1_dp_op_CI_CI
                                        ; -- End function
	.section	.AMDGPU.csdata,"",@progbits
; Kernel info:
; codeLenInByte = 12532
; NumSgprs: 24
; NumVgprs: 244
; ScratchSize: 0
; MemoryBound: 0
; FloatMode: 240
; IeeeMode: 1
; LDSByteSize: 17280 bytes/workgroup (compile time only)
; SGPRBlocks: 2
; VGPRBlocks: 30
; NumSGPRsForWavesPerEU: 24
; NumVGPRsForWavesPerEU: 244
; Occupancy: 4
; WaveLimiterHint : 1
; COMPUTE_PGM_RSRC2:SCRATCH_EN: 0
; COMPUTE_PGM_RSRC2:USER_SGPR: 6
; COMPUTE_PGM_RSRC2:TRAP_HANDLER: 0
; COMPUTE_PGM_RSRC2:TGID_X_EN: 1
; COMPUTE_PGM_RSRC2:TGID_Y_EN: 0
; COMPUTE_PGM_RSRC2:TGID_Z_EN: 0
; COMPUTE_PGM_RSRC2:TIDIG_COMP_CNT: 0
	.text
	.p2alignl 6, 3214868480
	.fill 48, 4, 3214868480
	.type	__hip_cuid_e4f4439dc5ceb056,@object ; @__hip_cuid_e4f4439dc5ceb056
	.section	.bss,"aw",@nobits
	.globl	__hip_cuid_e4f4439dc5ceb056
__hip_cuid_e4f4439dc5ceb056:
	.byte	0                               ; 0x0
	.size	__hip_cuid_e4f4439dc5ceb056, 1

	.ident	"AMD clang version 19.0.0git (https://github.com/RadeonOpenCompute/llvm-project roc-6.4.0 25133 c7fe45cf4b819c5991fe208aaa96edf142730f1d)"
	.section	".note.GNU-stack","",@progbits
	.addrsig
	.addrsig_sym __hip_cuid_e4f4439dc5ceb056
	.amdgpu_metadata
---
amdhsa.kernels:
  - .args:
      - .actual_access:  read_only
        .address_space:  global
        .offset:         0
        .size:           8
        .value_kind:     global_buffer
      - .actual_access:  read_only
        .address_space:  global
        .offset:         8
        .size:           8
        .value_kind:     global_buffer
      - .actual_access:  read_only
        .address_space:  global
        .offset:         16
        .size:           8
        .value_kind:     global_buffer
      - .actual_access:  read_only
        .address_space:  global
        .offset:         24
        .size:           8
        .value_kind:     global_buffer
      - .actual_access:  read_only
        .address_space:  global
        .offset:         32
        .size:           8
        .value_kind:     global_buffer
      - .offset:         40
        .size:           8
        .value_kind:     by_value
      - .address_space:  global
        .offset:         48
        .size:           8
        .value_kind:     global_buffer
      - .address_space:  global
        .offset:         56
        .size:           8
        .value_kind:     global_buffer
      - .address_space:  global
        .offset:         64
        .size:           8
        .value_kind:     global_buffer
      - .address_space:  global
        .offset:         72
        .size:           8
        .value_kind:     global_buffer
      - .offset:         80
        .size:           4
        .value_kind:     by_value
      - .address_space:  global
        .offset:         88
        .size:           8
        .value_kind:     global_buffer
      - .address_space:  global
        .offset:         96
        .size:           8
        .value_kind:     global_buffer
    .group_segment_fixed_size: 17280
    .kernarg_segment_align: 8
    .kernarg_segment_size: 104
    .language:       OpenCL C
    .language_version:
      - 2
      - 0
    .max_flat_workgroup_size: 108
    .name:           bluestein_single_fwd_len270_dim1_dp_op_CI_CI
    .private_segment_fixed_size: 0
    .sgpr_count:     24
    .sgpr_spill_count: 0
    .symbol:         bluestein_single_fwd_len270_dim1_dp_op_CI_CI.kd
    .uniform_work_group_size: 1
    .uses_dynamic_stack: false
    .vgpr_count:     244
    .vgpr_spill_count: 0
    .wavefront_size: 32
    .workgroup_processor_mode: 1
amdhsa.target:   amdgcn-amd-amdhsa--gfx1030
amdhsa.version:
  - 1
  - 2
...

	.end_amdgpu_metadata
